;; amdgpu-corpus repo=zjin-lcf/HeCBench kind=compiled arch=gfx1250 opt=O3
	.amdgcn_target "amdgcn-amd-amdhsa--gfx1250"
	.amdhsa_code_object_version 6
	.text
	.protected	_Z14kernel_w_blockPKhS0_Pj ; -- Begin function _Z14kernel_w_blockPKhS0_Pj
	.globl	_Z14kernel_w_blockPKhS0_Pj
	.p2align	8
	.type	_Z14kernel_w_blockPKhS0_Pj,@function
_Z14kernel_w_blockPKhS0_Pj:             ; @_Z14kernel_w_blockPKhS0_Pj
; %bb.0:
	s_load_b32 s2, s[0:1], 0x24
	s_bfe_u32 s3, ttmp6, 0x4000c
	s_and_b32 s4, ttmp6, 15
	s_add_co_i32 s3, s3, 1
	s_getreg_b32 s5, hwreg(HW_REG_IB_STS2, 6, 4)
	s_mul_i32 s3, ttmp9, s3
	s_delay_alu instid0(SALU_CYCLE_1)
	s_add_co_i32 s4, s4, s3
	s_wait_kmcnt 0x0
	s_and_b32 s2, s2, 0xffff
	s_cmp_eq_u32 s5, 0
	s_cselect_b32 s3, ttmp9, s4
	s_mov_b32 s4, exec_lo
	v_mad_u32 v0, s3, s2, v0
	s_mov_b32 s3, 0
	s_delay_alu instid0(VALU_DEP_1)
	v_cmpx_gt_u32_e32 0x100000, v0
	s_cbranch_execz .LBB0_3
; %bb.1:
	s_add_nc_u64 s[8:9], s[0:1], 24
	s_load_b64 s[10:11], s[0:1], 0x10
	s_load_b32 s12, s[8:9], 0x0
	s_load_b128 s[4:7], s[0:1], 0x0
	v_mov_b32_e32 v1, 0
	s_wait_xcnt 0x0
	s_mov_b32 s8, s3
	s_delay_alu instid0(VALU_DEP_1) | instskip(SKIP_2) | instid1(VALU_DEP_2)
	v_lshlrev_b64_e32 v[2:3], 8, v[0:1]
	v_mov_b64_e32 v[16:17], v[0:1]
	s_wait_kmcnt 0x0
	v_add_nc_u64_e32 v[14:15], s[10:11], v[2:3]
	s_mul_i32 s2, s12, s2
	s_delay_alu instid0(SALU_CYCLE_1)
	s_lshl_b64 s[0:1], s[2:3], 8
.LBB0_2:                                ; =>This Inner Loop Header: Depth=1
	s_clause 0x3
	global_load_b128 v[2:5], v1, s[4:5]
	global_load_b128 v[10:13], v1, s[6:7]
	global_load_b128 v[6:9], v1, s[6:7] offset:16
	global_load_b64 v[18:19], v1, s[6:7] offset:32
	v_and_b32_e32 v0, 0xffff, v16
	v_alignbit_b32 v20, v17, v16, 8
	v_add_nc_u64_e32 v[16:17], s[2:3], v[16:17]
	s_delay_alu instid0(VALU_DEP_3) | instskip(NEXT) | instid1(VALU_DEP_3)
	v_perm_b32 v0, 0, v0, 0x10203
	v_and_b32_e32 v20, 0xffffff00, v20
	s_delay_alu instid0(VALU_DEP_3) | instskip(NEXT) | instid1(VALU_DEP_2)
	v_cmp_lt_u64_e32 vcc_lo, 0xfffff, v[16:17]
	v_add_nc_u32_e32 v0, v0, v20
	s_delay_alu instid0(VALU_DEP_1) | instskip(SKIP_1) | instid1(VALU_DEP_1)
	v_dual_lshrrev_b32 v20, 7, v0 :: v_dual_lshrrev_b32 v22, 3, v0
	v_alignbit_b32 v21, v0, v0, 18
	v_xor3_b32 v20, v20, v21, v22
	s_wait_loadcnt 0x3
	v_readfirstlane_b32 s9, v3
	s_wait_loadcnt 0x2
	v_readfirstlane_b32 s10, v10
	v_readfirstlane_b32 s12, v12
	;; [unrolled: 1-line block ×3, first 2 shown]
	s_wait_loadcnt 0x1
	v_readfirstlane_b32 s14, v8
	v_dual_lshlrev_b32 v3, 24, v2 :: v_dual_lshlrev_b32 v8, 8, v2
	v_dual_lshlrev_b32 v10, 8, v4 :: v_dual_lshlrev_b32 v11, 24, v5
	v_dual_lshlrev_b32 v22, 8, v5 :: v_dual_lshlrev_b32 v29, 24, v7
	v_lshlrev_b32_e32 v30, 8, v7
	v_readfirstlane_b32 s13, v13
	v_readfirstlane_b32 s15, v9
	s_lshl_b32 s24, s9, 8
	s_lshl_b32 s26, s10, 8
	;; [unrolled: 1-line block ×3, first 2 shown]
	s_lshr_b32 s16, s9, 24
	s_lshr_b32 s17, s10, 24
	;; [unrolled: 1-line block ×3, first 2 shown]
	s_lshl_b32 s23, s9, 24
	s_lshr_b32 s9, s9, 8
	s_lshl_b32 s25, s10, 24
	s_lshr_b32 s10, s10, 8
	;; [unrolled: 2-line block ×3, first 2 shown]
	s_and_b32 s24, s24, 0xff0000
	s_and_b32 s26, s26, 0xff0000
	;; [unrolled: 1-line block ×3, first 2 shown]
	v_dual_lshrrev_b32 v21, 24, v2 :: v_dual_lshrrev_b32 v24, 24, v4
	v_dual_lshrrev_b32 v25, 24, v5 :: v_dual_lshrrev_b32 v12, 24, v6
	;; [unrolled: 1-line block ×3, first 2 shown]
	v_dual_lshlrev_b32 v9, 24, v4 :: v_dual_lshrrev_b32 v4, 8, v4
	v_dual_lshrrev_b32 v5, 8, v5 :: v_dual_lshlrev_b32 v23, 24, v6
	v_dual_lshlrev_b32 v28, 8, v6 :: v_dual_lshrrev_b32 v6, 8, v6
	s_wait_loadcnt 0x0
	v_dual_lshrrev_b32 v7, 8, v7 :: v_dual_lshlrev_b32 v31, 24, v18
	v_lshlrev_b32_e32 v32, 8, v18
	v_and_b32_e32 v8, 0xff0000, v8
	v_and_b32_e32 v10, 0xff0000, v10
	;; [unrolled: 1-line block ×4, first 2 shown]
	s_and_b32 s9, s9, 0xff00
	s_and_b32 s10, s10, 0xff00
	;; [unrolled: 1-line block ×3, first 2 shown]
	s_or_b32 s23, s23, s24
	s_or_b32 s24, s25, s26
	s_or_b32 s26, s29, s30
	s_lshl_b32 s28, s11, 8
	s_lshl_b32 s33, s13, 8
	;; [unrolled: 1-line block ×3, first 2 shown]
	s_or_b32 s9, s23, s9
	s_or_b32 s10, s24, s10
	;; [unrolled: 1-line block ×3, first 2 shown]
	s_lshr_b32 s18, s11, 24
	s_lshr_b32 s20, s13, 24
	;; [unrolled: 1-line block ×3, first 2 shown]
	s_lshl_b32 s27, s11, 24
	s_lshr_b32 s11, s11, 8
	s_lshl_b32 s31, s13, 24
	s_lshr_b32 s13, s13, 8
	;; [unrolled: 2-line block ×3, first 2 shown]
	s_and_b32 s28, s28, 0xff0000
	s_and_b32 s33, s33, 0xff0000
	;; [unrolled: 1-line block ×3, first 2 shown]
	v_dual_lshrrev_b32 v26, 24, v18 :: v_dual_lshrrev_b32 v27, 24, v19
	v_dual_lshrrev_b32 v18, 8, v18 :: v_dual_lshlrev_b32 v33, 24, v19
	v_dual_lshlrev_b32 v34, 8, v19 :: v_dual_lshrrev_b32 v19, 8, v19
	v_or_b32_e32 v3, v3, v8
	v_and_b32_e32 v2, 0xff00, v2
	v_and_b32_e32 v5, 0xff00, v5
	;; [unrolled: 1-line block ×5, first 2 shown]
	s_or_b32 s9, s9, s16
	v_or_b32_e32 v8, v9, v10
	s_or_b32 s10, s10, s17
	v_or_b32_e32 v9, v11, v22
	s_or_b32 s12, s12, s19
	s_delay_alu instid0(SALU_CYCLE_1)
	v_dual_mov_b32 v22, s12 :: v_dual_bitop2_b32 v11, v29, v30 bitop3:0x54
	s_and_b32 s11, s11, 0xff00
	s_and_b32 s13, s13, 0xff00
	;; [unrolled: 1-line block ×3, first 2 shown]
	s_or_b32 s25, s27, s28
	s_or_b32 s27, s31, s33
	;; [unrolled: 1-line block ×3, first 2 shown]
	s_lshl_b32 s35, s14, 8
	s_or_b32 s11, s25, s11
	s_or_b32 s13, s27, s13
	;; [unrolled: 1-line block ×3, first 2 shown]
	s_lshr_b32 s21, s14, 24
	s_lshl_b32 s34, s14, 24
	s_lshr_b32 s14, s14, 8
	s_and_b32 s35, s35, 0xff0000
	v_and_b32_e32 v4, 0xff00, v4
	v_and_b32_e32 v18, 0xff00, v18
	;; [unrolled: 1-line block ×3, first 2 shown]
	s_or_b32 s11, s11, s18
	v_or_b32_e32 v10, v23, v28
	s_or_b32 s13, s13, s20
	s_delay_alu instid0(SALU_CYCLE_1)
	v_dual_mov_b32 v23, s13 :: v_dual_bitop2_b32 v28, v31, v32 bitop3:0x54
	s_or_b32 s15, s15, s22
	v_dual_mov_b32 v2, s10 :: v_dual_bitop2_b32 v30, v3, v2 bitop3:0x54
	v_or_b32_e32 v32, v9, v5
	v_or_b32_e32 v7, v11, v7
	s_and_b32 s14, s14, 0xff00
	s_or_b32 s28, s34, s35
	v_and_b32_e32 v6, 0xff00, v6
	s_or_b32 s14, s28, s14
	v_and_b32_e32 v19, 0xff00, v19
	s_or_b32 s14, s14, s21
	v_dual_mov_b32 v9, s9 :: v_dual_bitop2_b32 v29, v33, v34 bitop3:0x54
	v_or_b32_e32 v11, v32, v25
	v_or_b32_e32 v25, v7, v13
	;; [unrolled: 1-line block ×3, first 2 shown]
	v_dual_mov_b32 v3, s11 :: v_dual_bitop2_b32 v31, v8, v4 bitop3:0x54
	v_dual_mov_b32 v4, s14 :: v_dual_mov_b32 v5, s15
	v_alignbit_b32 v28, s9, s9, 7
	v_alignbit_b32 v43, s15, s15, 7
	;; [unrolled: 1-line block ×3, first 2 shown]
	v_or_b32_e32 v8, v30, v21
	v_or_b32_e32 v6, v10, v6
	v_dual_lshrrev_b32 v13, 10, v18 :: v_dual_bitop2_b32 v10, v31, v24 bitop3:0x54
	v_or_b32_e32 v19, v29, v19
	v_alignbit_b32 v29, s9, s9, 18
	v_alignbit_b32 v37, s12, s12, 7
	;; [unrolled: 1-line block ×5, first 2 shown]
	v_or_b32_e32 v24, v6, v12
	v_xor_b32_e32 v12, v28, v29
	v_xor_b32_e32 v29, v43, v44
	s_lshr_b32 s22, s15, 3
	v_alignbit_b32 v33, s10, s10, 7
	v_alignbit_b32 v34, s10, s10, 18
	v_or_b32_e32 v7, v19, v27
	v_or_b32_e32 v6, v18, v26
	v_xor_b32_e32 v27, v39, v40
	v_xor_b32_e32 v29, s22, v29
	;; [unrolled: 1-line block ×3, first 2 shown]
	s_lshr_b32 s16, s9, 3
	s_lshr_b32 s19, s12, 3
	;; [unrolled: 1-line block ×3, first 2 shown]
	s_delay_alu instid0(VALU_DEP_1)
	v_dual_lshrrev_b32 v46, 3, v7 :: v_dual_bitop2_b32 v26, s19, v26 bitop3:0x14
	v_dual_lshrrev_b32 v43, 3, v6 :: v_dual_bitop2_b32 v27, s20, v27 bitop3:0x14
	v_dual_lshrrev_b32 v40, 3, v25 :: v_dual_lshrrev_b32 v37, 3, v24
	s_clause 0x3
	global_store_b128 v[14:15], v[8:11], off
	global_store_b128 v[14:15], v[0:3], off offset:16
	global_store_b128 v[14:15], v[22:25], off offset:32
	;; [unrolled: 1-line block ×3, first 2 shown]
	s_wait_xcnt 0x2
	v_xor_b32_e32 v3, s16, v12
	s_wait_xcnt 0x0
	v_alignbit_b32 v5, v6, v6, 19
	v_dual_lshrrev_b32 v22, 3, v10 :: v_dual_lshrrev_b32 v18, 10, v19
	v_dual_lshrrev_b32 v33, 3, v11 :: v_dual_bitop2_b32 v19, v33, v34 bitop3:0x14
	v_add_nc_u32_e32 v2, s13, v8
	v_alignbit_b32 v4, v6, v6, 17
	v_alignbit_b32 v41, s14, s14, 7
	;; [unrolled: 1-line block ×3, first 2 shown]
	s_delay_alu instid0(VALU_DEP_4)
	v_dual_add_nc_u32 v8, s9, v24 :: v_dual_add_nc_u32 v2, v2, v3
	v_dual_add_nc_u32 v13, s11, v26 :: v_dual_bitop2_b32 v3, v5, v13 bitop3:0x14
	v_add_nc_u32_e32 v34, s10, v7
	v_alignbit_b32 v9, v10, v10, 7
	v_alignbit_b32 v12, v10, v10, 18
	;; [unrolled: 1-line block ×6, first 2 shown]
	v_xor_b32_e32 v5, v9, v12
	v_xor_b32_e32 v9, v30, v18
	v_dual_add_nc_u32 v10, v10, v25 :: v_dual_bitop2_b32 v3, v3, v4 bitop3:0x14
	s_delay_alu instid0(VALU_DEP_4) | instskip(NEXT) | instid1(VALU_DEP_4)
	v_xor_b32_e32 v12, v31, v32
	v_xor_b32_e32 v4, v5, v22
	;; [unrolled: 1-line block ×4, first 2 shown]
	v_add_nc_u32_e32 v2, v2, v3
	s_lshr_b32 s21, s14, 3
	v_add_nc_u32_e32 v3, v8, v4
	v_alignbit_b32 v35, s11, s11, 7
	v_alignbit_b32 v36, s11, s11, 18
	;; [unrolled: 1-line block ×3, first 2 shown]
	s_delay_alu instid0(VALU_DEP_4)
	v_dual_add_nc_u32 v3, v3, v5 :: v_dual_bitop2_b32 v28, s21, v28 bitop3:0x14
	v_xor_b32_e32 v9, v12, v33
	v_alignbit_b32 v5, v2, v2, 17
	v_alignbit_b32 v38, v25, v25, 7
	;; [unrolled: 1-line block ×4, first 2 shown]
	v_dual_add_nc_u32 v4, v10, v9 :: v_dual_lshrrev_b32 v9, 10, v2
	v_xor_b32_e32 v5, v5, v8
	v_dual_add_nc_u32 v25, v28, v25 :: v_dual_bitop2_b32 v21, v35, v36 bitop3:0x14
	v_alignbit_b32 v35, v24, v24, 7
	v_alignbit_b32 v36, v24, v24, 18
	;; [unrolled: 1-line block ×3, first 2 shown]
	v_xor_b32_e32 v5, v5, v9
	v_alignbit_b32 v41, v6, v6, 7
	v_alignbit_b32 v42, v6, v6, 18
	v_dual_add_nc_u32 v18, s12, v27 :: v_dual_bitop2_b32 v26, v35, v36 bitop3:0x14
	v_xor_b32_e32 v30, v44, v45
	v_dual_add_nc_u32 v4, v4, v5 :: v_dual_bitop2_b32 v27, v38, v39 bitop3:0x14
	s_lshr_b32 s17, s10, 3
	s_delay_alu instid0(VALU_DEP_3) | instskip(NEXT) | instid1(VALU_DEP_3)
	v_xor_b32_e32 v12, v26, v37
	v_xor_b32_e32 v26, v30, v46
	v_alignbit_b32 v10, v2, v2, 7
	v_dual_lshrrev_b32 v27, 3, v2 :: v_dual_bitop2_b32 v22, v27, v40 bitop3:0x14
	v_dual_add_nc_u32 v28, s14, v29 :: v_dual_bitop2_b32 v29, v41, v42 bitop3:0x14
	s_delay_alu instid0(VALU_DEP_2) | instskip(SKIP_2) | instid1(VALU_DEP_4)
	v_dual_add_nc_u32 v22, v22, v24 :: v_dual_bitop2_b32 v19, s17, v19 bitop3:0x14
	v_add_nc_u32_e32 v24, v26, v6
	v_alignbit_b32 v26, v2, v2, 18
	v_xor_b32_e32 v23, v29, v43
	v_alignbit_b32 v8, v3, v3, 17
	v_alignbit_b32 v29, v3, v3, 19
	s_delay_alu instid0(VALU_DEP_4) | instskip(SKIP_2) | instid1(VALU_DEP_4)
	v_dual_lshrrev_b32 v30, 10, v3 :: v_dual_bitop2_b32 v10, v10, v26 bitop3:0x14
	v_alignbit_b32 v26, v3, v3, 7
	v_alignbit_b32 v31, v3, v3, 18
	v_dual_lshrrev_b32 v32, 3, v3 :: v_dual_bitop2_b32 v8, v8, v29 bitop3:0x14
	s_delay_alu instid0(VALU_DEP_4) | instskip(SKIP_1) | instid1(VALU_DEP_4)
	v_xor_b32_e32 v9, v10, v27
	v_alignbit_b32 v29, v4, v4, 18
	v_xor_b32_e32 v10, v26, v31
	s_delay_alu instid0(VALU_DEP_4) | instskip(NEXT) | instid1(VALU_DEP_4)
	v_dual_lshrrev_b32 v30, 3, v4 :: v_dual_bitop2_b32 v8, v8, v30 bitop3:0x14
	v_add_nc_u32_e32 v26, v9, v7
	v_alignbit_b32 v9, v4, v4, 19
	s_delay_alu instid0(VALU_DEP_3) | instskip(SKIP_3) | instid1(VALU_DEP_4)
	v_dual_add_nc_u32 v7, v8, v11 :: v_dual_bitop2_b32 v5, v10, v32 bitop3:0x14
	v_alignbit_b32 v8, v4, v4, 17
	v_lshrrev_b32_e32 v10, 10, v4
	v_alignbit_b32 v11, v4, v4, 7
	v_add_nc_u32_e32 v27, v5, v2
	v_add3_u32 v5, v7, s14, v20
	v_xor_b32_e32 v8, v8, v9
	s_lshr_b32 s18, s11, 3
	v_xor_b32_e32 v7, v11, v29
	s_or_b32 s8, vcc_lo, s8
	v_alignbit_b32 v9, v5, v5, 17
	v_xor_b32_e32 v8, v8, v10
	v_alignbit_b32 v10, v5, v5, 19
	v_dual_lshrrev_b32 v11, 10, v5 :: v_dual_bitop2_b32 v7, v7, v30 bitop3:0x14
	v_alignbit_b32 v20, v5, v5, 7
	v_alignbit_b32 v29, v5, v5, 18
	v_add3_u32 v8, v8, s15, v0
	s_delay_alu instid0(VALU_DEP_4) | instskip(SKIP_1) | instid1(VALU_DEP_4)
	v_xor3_b32 v9, v9, v10, v11
	v_dual_lshrrev_b32 v30, 3, v5 :: v_dual_add_nc_u32 v0, v7, v3
	v_xor_b32_e32 v7, v20, v29
	s_delay_alu instid0(VALU_DEP_4) | instskip(NEXT) | instid1(VALU_DEP_4)
	v_alignbit_b32 v10, v8, v8, 19
	v_add3_u32 v9, v19, v6, v9
	v_alignbit_b32 v6, v8, v8, 17
	v_lshrrev_b32_e32 v11, 10, v8
	v_xad_u32 v19, v7, v30, v4
	v_alignbit_b32 v7, v8, v8, 7
	v_alignbit_b32 v20, v8, v8, 18
	v_lshrrev_b32_e32 v30, 10, v9
	v_xor3_b32 v6, v6, v10, v11
	v_alignbit_b32 v10, v9, v9, 17
	v_alignbit_b32 v11, v9, v9, 19
	v_lshrrev_b32_e32 v32, 3, v9
	v_dual_add_nc_u32 v23, s15, v23 :: v_dual_bitop2_b32 v21, s18, v21 bitop3:0x14
	v_lshrrev_b32_e32 v29, 3, v8
	v_xor_b32_e32 v7, v7, v20
	v_alignbit_b32 v20, v9, v9, 7
	v_alignbit_b32 v31, v9, v9, 18
	v_xor3_b32 v11, v10, v11, v30
	v_add3_u32 v10, v34, v21, v6
	v_xad_u32 v21, v7, v29, v5
	s_delay_alu instid0(VALU_DEP_4) | instskip(NEXT) | instid1(VALU_DEP_4)
	v_dual_add_nc_u32 v12, s13, v12 :: v_dual_bitop2_b32 v6, v20, v31 bitop3:0x14
	v_add3_u32 v11, v13, v2, v11
	s_delay_alu instid0(VALU_DEP_4)
	v_alignbit_b32 v7, v10, v10, 17
	v_alignbit_b32 v13, v10, v10, 19
	v_lshrrev_b32_e32 v20, 10, v10
	v_xad_u32 v29, v6, v32, v8
	v_alignbit_b32 v6, v10, v10, 7
	v_alignbit_b32 v30, v10, v10, 18
	s_clause 0x1
	global_store_b128 v[14:15], v[2:5], off offset:64
	global_store_b128 v[14:15], v[8:11], off offset:80
	s_wait_xcnt 0x1
	v_xor3_b32 v2, v7, v13, v20
	v_alignbit_b32 v7, v11, v11, 17
	v_alignbit_b32 v13, v11, v11, 19
	v_dual_lshrrev_b32 v20, 10, v11 :: v_dual_lshrrev_b32 v31, 3, v10
	v_xor_b32_e32 v6, v6, v30
	v_alignbit_b32 v30, v11, v11, 7
	v_alignbit_b32 v32, v11, v11, 18
	s_delay_alu instid0(VALU_DEP_4)
	v_xor3_b32 v7, v7, v13, v20
	v_add3_u32 v2, v18, v3, v2
	v_lshrrev_b32_e32 v33, 3, v11
	v_xad_u32 v13, v6, v31, v9
	v_xor_b32_e32 v6, v30, v32
	v_add3_u32 v3, v12, v4, v7
	v_alignbit_b32 v4, v2, v2, 17
	v_alignbit_b32 v7, v2, v2, 19
	v_lshrrev_b32_e32 v12, 10, v2
	v_xad_u32 v18, v6, v33, v10
	v_alignbit_b32 v6, v2, v2, 7
	v_alignbit_b32 v20, v2, v2, 18
	v_lshrrev_b32_e32 v31, 10, v3
	v_xor3_b32 v4, v4, v7, v12
	v_alignbit_b32 v7, v3, v3, 17
	v_alignbit_b32 v12, v3, v3, 19
	v_dual_lshrrev_b32 v30, 3, v2 :: v_dual_bitop2_b32 v6, v6, v20 bitop3:0x14
	v_alignbit_b32 v20, v3, v3, 7
	v_alignbit_b32 v32, v3, v3, 18
	s_delay_alu instid0(VALU_DEP_4)
	v_xor3_b32 v7, v7, v12, v31
	v_add3_u32 v4, v22, v5, v4
	v_lshrrev_b32_e32 v33, 3, v3
	v_xad_u32 v12, v6, v30, v11
	v_xor_b32_e32 v6, v20, v32
	v_add3_u32 v5, v25, v8, v7
	v_alignbit_b32 v7, v4, v4, 17
	s_wait_xcnt 0x0
	v_alignbit_b32 v8, v4, v4, 19
	v_lshrrev_b32_e32 v20, 10, v4
	v_xad_u32 v22, v6, v33, v2
	v_alignbit_b32 v6, v4, v4, 7
	v_alignbit_b32 v25, v4, v4, 18
	v_lshrrev_b32_e32 v31, 10, v5
	v_xor3_b32 v7, v7, v8, v20
	v_alignbit_b32 v8, v5, v5, 17
	v_alignbit_b32 v20, v5, v5, 19
	v_xor_b32_e32 v25, v6, v25
	v_alignbit_b32 v32, v5, v5, 7
	v_add3_u32 v6, v28, v9, v7
	v_alignbit_b32 v33, v5, v5, 18
	v_xor3_b32 v8, v8, v20, v31
	v_dual_lshrrev_b32 v30, 3, v4 :: v_dual_lshrrev_b32 v34, 3, v5
	s_delay_alu instid0(VALU_DEP_4) | instskip(NEXT) | instid1(VALU_DEP_4)
	v_alignbit_b32 v28, v6, v6, 18
	v_xor_b32_e32 v9, v32, v33
	s_delay_alu instid0(VALU_DEP_4) | instskip(SKIP_2) | instid1(VALU_DEP_3)
	v_add3_u32 v7, v23, v10, v8
	v_alignbit_b32 v8, v6, v6, 17
	v_alignbit_b32 v10, v6, v6, 19
	v_dual_lshrrev_b32 v23, 10, v6 :: v_dual_lshrrev_b32 v31, 10, v7
	v_alignbit_b32 v32, v7, v7, 18
	v_lshrrev_b32_e32 v33, 3, v7
	s_delay_alu instid0(VALU_DEP_3) | instskip(SKIP_2) | instid1(VALU_DEP_3)
	v_xor3_b32 v8, v8, v10, v23
	v_alignbit_b32 v10, v7, v7, 17
	v_alignbit_b32 v23, v7, v7, 19
	v_add3_u32 v8, v24, v11, v8
	s_delay_alu instid0(VALU_DEP_2) | instskip(NEXT) | instid1(VALU_DEP_2)
	v_xor3_b32 v10, v10, v23, v31
	v_lshrrev_b32_e32 v31, 3, v8
	v_xad_u32 v20, v25, v30, v3
	v_xad_u32 v25, v9, v34, v4
	v_alignbit_b32 v9, v6, v6, 7
	v_lshrrev_b32_e32 v30, 3, v6
	v_alignbit_b32 v24, v8, v8, 19
	s_delay_alu instid0(VALU_DEP_3) | instskip(SKIP_1) | instid1(VALU_DEP_2)
	v_xor_b32_e32 v9, v9, v28
	v_alignbit_b32 v28, v7, v7, 7
	v_xad_u32 v11, v9, v30, v5
	v_add3_u32 v9, v26, v2, v10
	v_alignbit_b32 v10, v8, v8, 17
	v_lshrrev_b32_e32 v26, 10, v8
	s_clause 0x1
	global_store_b128 v[14:15], v[2:5], off offset:96
	global_store_b128 v[14:15], v[6:9], off offset:112
	v_alignbit_b32 v30, v8, v8, 18
	s_wait_xcnt 0x1
	v_xor3_b32 v2, v10, v24, v26
	v_alignbit_b32 v10, v9, v9, 17
	v_alignbit_b32 v24, v9, v9, 19
	v_lshrrev_b32_e32 v26, 10, v9
	s_delay_alu instid0(VALU_DEP_4) | instskip(NEXT) | instid1(VALU_DEP_2)
	v_add3_u32 v2, v27, v3, v2
	v_xor3_b32 v10, v10, v24, v26
	s_delay_alu instid0(VALU_DEP_2) | instskip(NEXT) | instid1(VALU_DEP_2)
	v_alignbit_b32 v27, v2, v2, 7
	v_add3_u32 v3, v0, v4, v10
	v_xor_b32_e32 v23, v28, v32
	v_alignbit_b32 v28, v8, v8, 7
	v_alignbit_b32 v0, v2, v2, 17
	;; [unrolled: 1-line block ×3, first 2 shown]
	v_lshrrev_b32_e32 v10, 10, v2
	v_xad_u32 v23, v23, v33, v6
	v_xor_b32_e32 v28, v28, v30
	v_alignbit_b32 v30, v9, v9, 7
	v_alignbit_b32 v32, v9, v9, 18
	v_xor3_b32 v0, v0, v4, v10
	v_alignbit_b32 v4, v3, v3, 17
	v_xad_u32 v24, v28, v31, v7
	v_alignbit_b32 v10, v3, v3, 19
	v_lshrrev_b32_e32 v31, 10, v3
	v_alignbit_b32 v28, v2, v2, 18
	v_lshrrev_b32_e32 v33, 3, v9
	s_delay_alu instid0(VALU_DEP_3) | instskip(SKIP_1) | instid1(VALU_DEP_2)
	v_xor3_b32 v10, v4, v10, v31
	v_add3_u32 v4, v19, v5, v0
	v_add3_u32 v5, v21, v6, v10
	s_wait_xcnt 0x0
	s_delay_alu instid0(VALU_DEP_2)
	v_alignbit_b32 v6, v4, v4, 17
	v_alignbit_b32 v10, v4, v4, 19
	v_lshrrev_b32_e32 v21, 10, v4
	v_dual_lshrrev_b32 v31, 10, v5 :: v_dual_bitop2_b32 v26, v30, v32 bitop3:0x14
	v_xor_b32_e32 v27, v27, v28
	v_alignbit_b32 v28, v3, v3, 7
	v_alignbit_b32 v32, v3, v3, 18
	v_xor3_b32 v6, v6, v10, v21
	v_alignbit_b32 v10, v5, v5, 17
	v_alignbit_b32 v21, v5, v5, 19
	v_xad_u32 v26, v26, v33, v8
	v_dual_lshrrev_b32 v30, 3, v2 :: v_dual_lshrrev_b32 v33, 3, v3
	v_add3_u32 v6, v29, v7, v6
	v_xor_b32_e32 v19, v28, v32
	v_xor3_b32 v10, v10, v21, v31
	v_alignbit_b32 v28, v4, v4, 18
	v_alignbit_b32 v32, v5, v5, 18
	;; [unrolled: 1-line block ×3, first 2 shown]
	s_delay_alu instid0(VALU_DEP_4)
	v_add3_u32 v7, v13, v8, v10
	v_lshrrev_b32_e32 v13, 10, v6
	v_xad_u32 v19, v19, v33, v2
	v_lshrrev_b32_e32 v33, 3, v5
	v_xad_u32 v0, v27, v30, v9
	v_alignbit_b32 v27, v4, v4, 7
	v_dual_lshrrev_b32 v30, 3, v4 :: v_dual_lshrrev_b32 v31, 10, v7
	v_alignbit_b32 v8, v6, v6, 17
	v_alignbit_b32 v10, v6, v6, 19
	s_delay_alu instid0(VALU_DEP_4) | instskip(SKIP_1) | instid1(VALU_DEP_3)
	v_xor_b32_e32 v27, v27, v28
	v_alignbit_b32 v28, v5, v5, 7
	v_xor3_b32 v8, v8, v10, v13
	s_delay_alu instid0(VALU_DEP_3) | instskip(NEXT) | instid1(VALU_DEP_3)
	v_xad_u32 v21, v27, v30, v3
	v_xor_b32_e32 v27, v28, v32
	v_alignbit_b32 v28, v6, v6, 7
	v_alignbit_b32 v10, v7, v7, 17
	;; [unrolled: 1-line block ×3, first 2 shown]
	v_lshrrev_b32_e32 v30, 3, v6
	v_alignbit_b32 v32, v7, v7, 18
	v_add3_u32 v8, v18, v9, v8
	v_xor_b32_e32 v28, v28, v29
	v_alignbit_b32 v29, v7, v7, 7
	v_xor3_b32 v10, v10, v13, v31
	v_xad_u32 v27, v27, v33, v4
	v_lshrrev_b32_e32 v31, 3, v8
	v_xad_u32 v13, v28, v30, v5
	v_alignbit_b32 v30, v8, v8, 18
	v_add3_u32 v9, v12, v2, v10
	v_xor_b32_e32 v18, v29, v32
	v_alignbit_b32 v10, v8, v8, 17
	v_alignbit_b32 v12, v8, v8, 19
	;; [unrolled: 1-line block ×3, first 2 shown]
	v_lshrrev_b32_e32 v28, 10, v8
	s_clause 0x1
	global_store_b128 v[14:15], v[2:5], off offset:128
	global_store_b128 v[14:15], v[6:9], off offset:144
	v_lshrrev_b32_e32 v33, 3, v7
	v_alignbit_b32 v32, v9, v9, 18
	v_xor_b32_e32 v29, v29, v30
	s_wait_xcnt 0x1
	v_xor3_b32 v2, v10, v12, v28
	v_alignbit_b32 v10, v9, v9, 17
	v_alignbit_b32 v12, v9, v9, 19
	v_lshrrev_b32_e32 v28, 10, v9
	v_alignbit_b32 v30, v9, v9, 7
	v_add3_u32 v2, v22, v3, v2
	v_xad_u32 v18, v18, v33, v6
	v_lshrrev_b32_e32 v33, 3, v9
	v_xor3_b32 v10, v10, v12, v28
	v_xor_b32_e32 v12, v30, v32
	v_xad_u32 v22, v29, v31, v7
	v_alignbit_b32 v29, v2, v2, 18
	v_lshrrev_b32_e32 v30, 3, v2
	v_add3_u32 v3, v20, v4, v10
	v_alignbit_b32 v4, v2, v2, 17
	v_alignbit_b32 v10, v2, v2, 19
	v_lshrrev_b32_e32 v20, 10, v2
	v_xad_u32 v28, v12, v33, v8
	v_alignbit_b32 v12, v2, v2, 7
	v_lshrrev_b32_e32 v31, 10, v3
	v_alignbit_b32 v32, v3, v3, 18
	v_xor3_b32 v4, v4, v10, v20
	v_alignbit_b32 v10, v3, v3, 17
	v_alignbit_b32 v20, v3, v3, 19
	v_xor_b32_e32 v12, v12, v29
	v_alignbit_b32 v29, v3, v3, 7
	v_add3_u32 v4, v25, v5, v4
	v_lshrrev_b32_e32 v33, 3, v3
	v_xor3_b32 v10, v10, v20, v31
	v_xad_u32 v25, v12, v30, v9
	v_xor_b32_e32 v12, v29, v32
	v_alignbit_b32 v20, v4, v4, 18
	v_lshrrev_b32_e32 v30, 3, v4
	v_add3_u32 v5, v11, v6, v10
	s_wait_xcnt 0x0
	v_alignbit_b32 v6, v4, v4, 17
	v_alignbit_b32 v10, v4, v4, 19
	v_lshrrev_b32_e32 v11, 10, v4
	v_xad_u32 v29, v12, v33, v2
	v_alignbit_b32 v12, v4, v4, 7
	v_lshrrev_b32_e32 v31, 10, v5
	v_alignbit_b32 v32, v5, v5, 18
	v_xor3_b32 v6, v6, v10, v11
	v_alignbit_b32 v10, v5, v5, 17
	v_alignbit_b32 v11, v5, v5, 19
	v_xor_b32_e32 v12, v12, v20
	v_alignbit_b32 v20, v5, v5, 7
	v_add3_u32 v6, v23, v7, v6
	v_lshrrev_b32_e32 v33, 3, v5
	v_xor3_b32 v10, v10, v11, v31
	v_xad_u32 v23, v12, v30, v3
	s_delay_alu instid0(VALU_DEP_4) | instskip(SKIP_1) | instid1(VALU_DEP_4)
	v_dual_lshrrev_b32 v12, 10, v6 :: v_dual_bitop2_b32 v11, v20, v32 bitop3:0x14
	v_lshrrev_b32_e32 v30, 3, v6
	v_add3_u32 v7, v24, v8, v10
	v_alignbit_b32 v8, v6, v6, 17
	v_alignbit_b32 v10, v6, v6, 19
	v_xad_u32 v24, v11, v33, v4
	v_alignbit_b32 v11, v6, v6, 7
	v_alignbit_b32 v20, v6, v6, 18
	v_lshrrev_b32_e32 v31, 10, v7
	v_xor3_b32 v8, v8, v10, v12
	v_alignbit_b32 v10, v7, v7, 17
	v_alignbit_b32 v12, v7, v7, 19
	v_xor_b32_e32 v11, v11, v20
	v_alignbit_b32 v20, v7, v7, 7
	v_alignbit_b32 v32, v7, v7, 18
	v_add3_u32 v8, v26, v9, v8
	v_xor3_b32 v10, v10, v12, v31
	v_lshrrev_b32_e32 v33, 3, v7
	v_xad_u32 v26, v11, v30, v5
	v_xor_b32_e32 v11, v20, v32
	v_dual_lshrrev_b32 v12, 10, v8 :: v_dual_lshrrev_b32 v31, 3, v8
	v_add3_u32 v9, v0, v2, v10
	v_alignbit_b32 v0, v8, v8, 17
	v_alignbit_b32 v10, v8, v8, 19
	v_xad_u32 v30, v11, v33, v6
	v_alignbit_b32 v11, v8, v8, 7
	v_alignbit_b32 v20, v8, v8, 18
	v_lshrrev_b32_e32 v32, 10, v9
	v_xor3_b32 v0, v0, v10, v12
	v_alignbit_b32 v10, v9, v9, 17
	v_alignbit_b32 v12, v9, v9, 19
	v_xor_b32_e32 v11, v11, v20
	v_alignbit_b32 v20, v9, v9, 7
	v_alignbit_b32 v33, v9, v9, 18
	s_clause 0x1
	global_store_b128 v[14:15], v[2:5], off offset:160
	global_store_b128 v[14:15], v[6:9], off offset:176
	v_xor3_b32 v12, v10, v12, v32
	v_add3_u32 v10, v19, v3, v0
	v_xad_u32 v0, v11, v31, v7
	v_lshrrev_b32_e32 v34, 3, v9
	v_xor_b32_e32 v31, v20, v33
	v_add3_u32 v11, v21, v4, v12
	v_alignbit_b32 v12, v10, v10, 17
	v_alignbit_b32 v19, v10, v10, 19
	v_lshrrev_b32_e32 v20, 10, v10
	v_alignbit_b32 v21, v10, v10, 7
	v_alignbit_b32 v32, v10, v10, 18
	;; [unrolled: 1-line block ×4, first 2 shown]
	v_lshrrev_b32_e32 v37, 10, v11
	v_xor3_b32 v12, v12, v19, v20
	v_dual_lshrrev_b32 v33, 3, v10 :: v_dual_bitop2_b32 v32, v21, v32 bitop3:0x14
	v_xad_u32 v31, v31, v34, v8
	s_delay_alu instid0(VALU_DEP_4) | instskip(NEXT) | instid1(VALU_DEP_4)
	v_xor3_b32 v19, v35, v36, v37
	v_add3_u32 v12, v27, v5, v12
	s_delay_alu instid0(VALU_DEP_4) | instskip(NEXT) | instid1(VALU_DEP_3)
	v_xad_u32 v32, v32, v33, v9
	v_add3_u32 v13, v13, v6, v19
	s_delay_alu instid0(VALU_DEP_3) | instskip(SKIP_1) | instid1(VALU_DEP_3)
	v_alignbit_b32 v19, v12, v12, 17
	v_alignbit_b32 v20, v12, v12, 19
	v_dual_lshrrev_b32 v21, 10, v12 :: v_dual_lshrrev_b32 v36, 10, v13
	v_alignbit_b32 v27, v13, v13, 17
	v_alignbit_b32 v35, v13, v13, 19
	s_delay_alu instid0(VALU_DEP_3) | instskip(NEXT) | instid1(VALU_DEP_2)
	v_xor3_b32 v19, v19, v20, v21
	v_xor3_b32 v20, v27, v35, v36
	s_delay_alu instid0(VALU_DEP_2) | instskip(NEXT) | instid1(VALU_DEP_2)
	v_add3_u32 v18, v18, v7, v19
	v_add3_u32 v19, v22, v8, v20
	s_delay_alu instid0(VALU_DEP_2) | instskip(SKIP_1) | instid1(VALU_DEP_3)
	v_alignbit_b32 v20, v18, v18, 17
	v_alignbit_b32 v21, v18, v18, 19
	v_dual_lshrrev_b32 v22, 10, v18 :: v_dual_lshrrev_b32 v36, 10, v19
	v_alignbit_b32 v27, v19, v19, 17
	v_alignbit_b32 v35, v19, v19, 19
	s_delay_alu instid0(VALU_DEP_3) | instskip(NEXT) | instid1(VALU_DEP_2)
	v_xor3_b32 v20, v20, v21, v22
	v_xor3_b32 v21, v27, v35, v36
	s_delay_alu instid0(VALU_DEP_2) | instskip(NEXT) | instid1(VALU_DEP_2)
	v_add3_u32 v20, v28, v9, v20
	v_add3_u32 v21, v25, v10, v21
	s_delay_alu instid0(VALU_DEP_2) | instskip(SKIP_1) | instid1(VALU_DEP_3)
	;; [unrolled: 12-line block ×5, first 2 shown]
	v_alignbit_b32 v0, v26, v26, 17
	v_alignbit_b32 v28, v26, v26, 19
	v_dual_lshrrev_b32 v29, 10, v26 :: v_dual_lshrrev_b32 v36, 10, v27
	v_alignbit_b32 v30, v27, v27, 17
	v_alignbit_b32 v35, v27, v27, 19
	s_delay_alu instid0(VALU_DEP_3) | instskip(NEXT) | instid1(VALU_DEP_2)
	v_xor3_b32 v0, v0, v28, v29
	v_xor3_b32 v29, v30, v35, v36
	s_delay_alu instid0(VALU_DEP_2) | instskip(NEXT) | instid1(VALU_DEP_2)
	v_add3_u32 v28, v31, v21, v0
	v_add3_u32 v29, v32, v22, v29
	s_clause 0x3
	global_store_b128 v[14:15], v[10:13], off offset:192
	global_store_b128 v[14:15], v[18:21], off offset:208
	;; [unrolled: 1-line block ×4, first 2 shown]
	s_wait_xcnt 0x0
	v_add_nc_u64_e32 v[14:15], s[0:1], v[14:15]
	s_and_not1_b32 exec_lo, exec_lo, s8
	s_cbranch_execnz .LBB0_2
.LBB0_3:
	s_endpgm
	.section	.rodata,"a",@progbits
	.p2align	6, 0x0
	.amdhsa_kernel _Z14kernel_w_blockPKhS0_Pj
		.amdhsa_group_segment_fixed_size 0
		.amdhsa_private_segment_fixed_size 0
		.amdhsa_kernarg_size 280
		.amdhsa_user_sgpr_count 2
		.amdhsa_user_sgpr_dispatch_ptr 0
		.amdhsa_user_sgpr_queue_ptr 0
		.amdhsa_user_sgpr_kernarg_segment_ptr 1
		.amdhsa_user_sgpr_dispatch_id 0
		.amdhsa_user_sgpr_kernarg_preload_length 0
		.amdhsa_user_sgpr_kernarg_preload_offset 0
		.amdhsa_user_sgpr_private_segment_size 0
		.amdhsa_wavefront_size32 1
		.amdhsa_uses_dynamic_stack 0
		.amdhsa_enable_private_segment 0
		.amdhsa_system_sgpr_workgroup_id_x 1
		.amdhsa_system_sgpr_workgroup_id_y 0
		.amdhsa_system_sgpr_workgroup_id_z 0
		.amdhsa_system_sgpr_workgroup_info 0
		.amdhsa_system_vgpr_workitem_id 0
		.amdhsa_next_free_vgpr 47
		.amdhsa_next_free_sgpr 38
		.amdhsa_named_barrier_count 0
		.amdhsa_reserve_vcc 1
		.amdhsa_float_round_mode_32 0
		.amdhsa_float_round_mode_16_64 0
		.amdhsa_float_denorm_mode_32 3
		.amdhsa_float_denorm_mode_16_64 3
		.amdhsa_fp16_overflow 0
		.amdhsa_memory_ordered 1
		.amdhsa_forward_progress 1
		.amdhsa_inst_pref_size 39
		.amdhsa_round_robin_scheduling 0
		.amdhsa_exception_fp_ieee_invalid_op 0
		.amdhsa_exception_fp_denorm_src 0
		.amdhsa_exception_fp_ieee_div_zero 0
		.amdhsa_exception_fp_ieee_overflow 0
		.amdhsa_exception_fp_ieee_underflow 0
		.amdhsa_exception_fp_ieee_inexact 0
		.amdhsa_exception_int_div_zero 0
	.end_amdhsa_kernel
	.text
.Lfunc_end0:
	.size	_Z14kernel_w_blockPKhS0_Pj, .Lfunc_end0-_Z14kernel_w_blockPKhS0_Pj
                                        ; -- End function
	.set _Z14kernel_w_blockPKhS0_Pj.num_vgpr, 47
	.set _Z14kernel_w_blockPKhS0_Pj.num_agpr, 0
	.set _Z14kernel_w_blockPKhS0_Pj.numbered_sgpr, 38
	.set _Z14kernel_w_blockPKhS0_Pj.num_named_barrier, 0
	.set _Z14kernel_w_blockPKhS0_Pj.private_seg_size, 0
	.set _Z14kernel_w_blockPKhS0_Pj.uses_vcc, 1
	.set _Z14kernel_w_blockPKhS0_Pj.uses_flat_scratch, 0
	.set _Z14kernel_w_blockPKhS0_Pj.has_dyn_sized_stack, 0
	.set _Z14kernel_w_blockPKhS0_Pj.has_recursion, 0
	.set _Z14kernel_w_blockPKhS0_Pj.has_indirect_call, 0
	.section	.AMDGPU.csdata,"",@progbits
; Kernel info:
; codeLenInByte = 4908
; TotalNumSgprs: 40
; NumVgprs: 47
; ScratchSize: 0
; MemoryBound: 0
; FloatMode: 240
; IeeeMode: 1
; LDSByteSize: 0 bytes/workgroup (compile time only)
; SGPRBlocks: 0
; VGPRBlocks: 2
; NumSGPRsForWavesPerEU: 40
; NumVGPRsForWavesPerEU: 47
; NamedBarCnt: 0
; Occupancy: 16
; WaveLimiterHint : 0
; COMPUTE_PGM_RSRC2:SCRATCH_EN: 0
; COMPUTE_PGM_RSRC2:USER_SGPR: 2
; COMPUTE_PGM_RSRC2:TRAP_HANDLER: 0
; COMPUTE_PGM_RSRC2:TGID_X_EN: 1
; COMPUTE_PGM_RSRC2:TGID_Y_EN: 0
; COMPUTE_PGM_RSRC2:TGID_Z_EN: 0
; COMPUTE_PGM_RSRC2:TIDIG_COMP_CNT: 0
	.text
	.p2alignl 7, 3214868480
	.fill 96, 4, 3214868480
	.section	.AMDGPU.gpr_maximums,"",@progbits
	.set amdgpu.max_num_vgpr, 0
	.set amdgpu.max_num_agpr, 0
	.set amdgpu.max_num_sgpr, 0
	.text
	.type	__hip_cuid_3ad0ed90da159419,@object ; @__hip_cuid_3ad0ed90da159419
	.section	.bss,"aw",@nobits
	.globl	__hip_cuid_3ad0ed90da159419
__hip_cuid_3ad0ed90da159419:
	.byte	0                               ; 0x0
	.size	__hip_cuid_3ad0ed90da159419, 1

	.ident	"AMD clang version 22.0.0git (https://github.com/RadeonOpenCompute/llvm-project roc-7.2.4 26084 f58b06dce1f9c15707c5f808fd002e18c2accf7e)"
	.section	".note.GNU-stack","",@progbits
	.addrsig
	.addrsig_sym __hip_cuid_3ad0ed90da159419
	.amdgpu_metadata
---
amdhsa.kernels:
  - .args:
      - .address_space:  global
        .offset:         0
        .size:           8
        .value_kind:     global_buffer
      - .address_space:  global
        .offset:         8
        .size:           8
        .value_kind:     global_buffer
      - .address_space:  global
        .offset:         16
        .size:           8
        .value_kind:     global_buffer
      - .offset:         24
        .size:           4
        .value_kind:     hidden_block_count_x
      - .offset:         28
        .size:           4
        .value_kind:     hidden_block_count_y
      - .offset:         32
        .size:           4
        .value_kind:     hidden_block_count_z
      - .offset:         36
        .size:           2
        .value_kind:     hidden_group_size_x
      - .offset:         38
        .size:           2
        .value_kind:     hidden_group_size_y
      - .offset:         40
        .size:           2
        .value_kind:     hidden_group_size_z
      - .offset:         42
        .size:           2
        .value_kind:     hidden_remainder_x
      - .offset:         44
        .size:           2
        .value_kind:     hidden_remainder_y
      - .offset:         46
        .size:           2
        .value_kind:     hidden_remainder_z
      - .offset:         64
        .size:           8
        .value_kind:     hidden_global_offset_x
      - .offset:         72
        .size:           8
        .value_kind:     hidden_global_offset_y
      - .offset:         80
        .size:           8
        .value_kind:     hidden_global_offset_z
      - .offset:         88
        .size:           2
        .value_kind:     hidden_grid_dims
    .group_segment_fixed_size: 0
    .kernarg_segment_align: 8
    .kernarg_segment_size: 280
    .language:       OpenCL C
    .language_version:
      - 2
      - 0
    .max_flat_workgroup_size: 1024
    .name:           _Z14kernel_w_blockPKhS0_Pj
    .private_segment_fixed_size: 0
    .sgpr_count:     40
    .sgpr_spill_count: 0
    .symbol:         _Z14kernel_w_blockPKhS0_Pj.kd
    .uniform_work_group_size: 1
    .uses_dynamic_stack: false
    .vgpr_count:     47
    .vgpr_spill_count: 0
    .wavefront_size: 32
amdhsa.target:   amdgcn-amd-amdhsa--gfx1250
amdhsa.version:
  - 1
  - 2
...

	.end_amdgpu_metadata
